;; amdgpu-corpus repo=ROCm/rocFFT kind=compiled arch=gfx1030 opt=O3
	.text
	.amdgcn_target "amdgcn-amd-amdhsa--gfx1030"
	.amdhsa_code_object_version 6
	.protected	fft_rtc_fwd_len2025_factors_3_3_5_5_3_3_wgs_135_tpt_135_halfLds_half_op_CI_CI_unitstride_sbrr_dirReg ; -- Begin function fft_rtc_fwd_len2025_factors_3_3_5_5_3_3_wgs_135_tpt_135_halfLds_half_op_CI_CI_unitstride_sbrr_dirReg
	.globl	fft_rtc_fwd_len2025_factors_3_3_5_5_3_3_wgs_135_tpt_135_halfLds_half_op_CI_CI_unitstride_sbrr_dirReg
	.p2align	8
	.type	fft_rtc_fwd_len2025_factors_3_3_5_5_3_3_wgs_135_tpt_135_halfLds_half_op_CI_CI_unitstride_sbrr_dirReg,@function
fft_rtc_fwd_len2025_factors_3_3_5_5_3_3_wgs_135_tpt_135_halfLds_half_op_CI_CI_unitstride_sbrr_dirReg: ; @fft_rtc_fwd_len2025_factors_3_3_5_5_3_3_wgs_135_tpt_135_halfLds_half_op_CI_CI_unitstride_sbrr_dirReg
; %bb.0:
	s_clause 0x2
	s_load_dwordx4 s[12:15], s[4:5], 0x0
	s_load_dwordx4 s[8:11], s[4:5], 0x58
	;; [unrolled: 1-line block ×3, first 2 shown]
	v_mul_u32_u24_e32 v1, 0x1e6, v0
	v_mov_b32_e32 v3, 0
	v_add_nc_u32_sdwa v5, s6, v1 dst_sel:DWORD dst_unused:UNUSED_PAD src0_sel:DWORD src1_sel:WORD_1
	v_mov_b32_e32 v1, 0
	v_mov_b32_e32 v6, v3
	v_mov_b32_e32 v2, 0
	s_waitcnt lgkmcnt(0)
	v_cmp_lt_u64_e64 s0, s[14:15], 2
	s_and_b32 vcc_lo, exec_lo, s0
	s_cbranch_vccnz .LBB0_8
; %bb.1:
	s_load_dwordx2 s[0:1], s[4:5], 0x10
	v_mov_b32_e32 v1, 0
	v_mov_b32_e32 v2, 0
	s_add_u32 s2, s18, 8
	s_addc_u32 s3, s19, 0
	s_add_u32 s6, s16, 8
	s_addc_u32 s7, s17, 0
	v_mov_b32_e32 v13, v2
	v_mov_b32_e32 v12, v1
	s_mov_b64 s[22:23], 1
	s_waitcnt lgkmcnt(0)
	s_add_u32 s20, s0, 8
	s_addc_u32 s21, s1, 0
.LBB0_2:                                ; =>This Inner Loop Header: Depth=1
	s_load_dwordx2 s[24:25], s[20:21], 0x0
                                        ; implicit-def: $vgpr14_vgpr15
	s_mov_b32 s0, exec_lo
	s_waitcnt lgkmcnt(0)
	v_or_b32_e32 v4, s25, v6
	v_cmpx_ne_u64_e32 0, v[3:4]
	s_xor_b32 s1, exec_lo, s0
	s_cbranch_execz .LBB0_4
; %bb.3:                                ;   in Loop: Header=BB0_2 Depth=1
	v_cvt_f32_u32_e32 v4, s24
	v_cvt_f32_u32_e32 v7, s25
	s_sub_u32 s0, 0, s24
	s_subb_u32 s26, 0, s25
	v_fmac_f32_e32 v4, 0x4f800000, v7
	v_rcp_f32_e32 v4, v4
	v_mul_f32_e32 v4, 0x5f7ffffc, v4
	v_mul_f32_e32 v7, 0x2f800000, v4
	v_trunc_f32_e32 v7, v7
	v_fmac_f32_e32 v4, 0xcf800000, v7
	v_cvt_u32_f32_e32 v7, v7
	v_cvt_u32_f32_e32 v4, v4
	v_mul_lo_u32 v8, s0, v7
	v_mul_hi_u32 v9, s0, v4
	v_mul_lo_u32 v10, s26, v4
	v_add_nc_u32_e32 v8, v9, v8
	v_mul_lo_u32 v9, s0, v4
	v_add_nc_u32_e32 v8, v8, v10
	v_mul_hi_u32 v10, v4, v9
	v_mul_lo_u32 v11, v4, v8
	v_mul_hi_u32 v14, v4, v8
	v_mul_hi_u32 v15, v7, v9
	v_mul_lo_u32 v9, v7, v9
	v_mul_hi_u32 v16, v7, v8
	v_mul_lo_u32 v8, v7, v8
	v_add_co_u32 v10, vcc_lo, v10, v11
	v_add_co_ci_u32_e32 v11, vcc_lo, 0, v14, vcc_lo
	v_add_co_u32 v9, vcc_lo, v10, v9
	v_add_co_ci_u32_e32 v9, vcc_lo, v11, v15, vcc_lo
	v_add_co_ci_u32_e32 v10, vcc_lo, 0, v16, vcc_lo
	v_add_co_u32 v8, vcc_lo, v9, v8
	v_add_co_ci_u32_e32 v9, vcc_lo, 0, v10, vcc_lo
	v_add_co_u32 v4, vcc_lo, v4, v8
	v_add_co_ci_u32_e32 v7, vcc_lo, v7, v9, vcc_lo
	v_mul_hi_u32 v8, s0, v4
	v_mul_lo_u32 v10, s26, v4
	v_mul_lo_u32 v9, s0, v7
	v_add_nc_u32_e32 v8, v8, v9
	v_mul_lo_u32 v9, s0, v4
	v_add_nc_u32_e32 v8, v8, v10
	v_mul_hi_u32 v10, v4, v9
	v_mul_lo_u32 v11, v4, v8
	v_mul_hi_u32 v14, v4, v8
	v_mul_hi_u32 v15, v7, v9
	v_mul_lo_u32 v9, v7, v9
	v_mul_hi_u32 v16, v7, v8
	v_mul_lo_u32 v8, v7, v8
	v_add_co_u32 v10, vcc_lo, v10, v11
	v_add_co_ci_u32_e32 v11, vcc_lo, 0, v14, vcc_lo
	v_add_co_u32 v9, vcc_lo, v10, v9
	v_add_co_ci_u32_e32 v9, vcc_lo, v11, v15, vcc_lo
	v_add_co_ci_u32_e32 v10, vcc_lo, 0, v16, vcc_lo
	v_add_co_u32 v8, vcc_lo, v9, v8
	v_add_co_ci_u32_e32 v9, vcc_lo, 0, v10, vcc_lo
	v_add_co_u32 v4, vcc_lo, v4, v8
	v_add_co_ci_u32_e32 v11, vcc_lo, v7, v9, vcc_lo
	v_mul_hi_u32 v16, v5, v4
	v_mad_u64_u32 v[9:10], null, v6, v4, 0
	v_mad_u64_u32 v[7:8], null, v5, v11, 0
	;; [unrolled: 1-line block ×3, first 2 shown]
	v_add_co_u32 v4, vcc_lo, v16, v7
	v_add_co_ci_u32_e32 v7, vcc_lo, 0, v8, vcc_lo
	v_add_co_u32 v4, vcc_lo, v4, v9
	v_add_co_ci_u32_e32 v4, vcc_lo, v7, v10, vcc_lo
	v_add_co_ci_u32_e32 v7, vcc_lo, 0, v15, vcc_lo
	v_add_co_u32 v4, vcc_lo, v4, v14
	v_add_co_ci_u32_e32 v9, vcc_lo, 0, v7, vcc_lo
	v_mul_lo_u32 v10, s25, v4
	v_mad_u64_u32 v[7:8], null, s24, v4, 0
	v_mul_lo_u32 v11, s24, v9
	v_sub_co_u32 v7, vcc_lo, v5, v7
	v_add3_u32 v8, v8, v11, v10
	v_sub_nc_u32_e32 v10, v6, v8
	v_subrev_co_ci_u32_e64 v10, s0, s25, v10, vcc_lo
	v_add_co_u32 v11, s0, v4, 2
	v_add_co_ci_u32_e64 v14, s0, 0, v9, s0
	v_sub_co_u32 v15, s0, v7, s24
	v_sub_co_ci_u32_e32 v8, vcc_lo, v6, v8, vcc_lo
	v_subrev_co_ci_u32_e64 v10, s0, 0, v10, s0
	v_cmp_le_u32_e32 vcc_lo, s24, v15
	v_cmp_eq_u32_e64 s0, s25, v8
	v_cndmask_b32_e64 v15, 0, -1, vcc_lo
	v_cmp_le_u32_e32 vcc_lo, s25, v10
	v_cndmask_b32_e64 v16, 0, -1, vcc_lo
	v_cmp_le_u32_e32 vcc_lo, s24, v7
	;; [unrolled: 2-line block ×3, first 2 shown]
	v_cndmask_b32_e64 v17, 0, -1, vcc_lo
	v_cmp_eq_u32_e32 vcc_lo, s25, v10
	v_cndmask_b32_e64 v7, v17, v7, s0
	v_cndmask_b32_e32 v10, v16, v15, vcc_lo
	v_add_co_u32 v15, vcc_lo, v4, 1
	v_add_co_ci_u32_e32 v16, vcc_lo, 0, v9, vcc_lo
	v_cmp_ne_u32_e32 vcc_lo, 0, v10
	v_cndmask_b32_e32 v8, v16, v14, vcc_lo
	v_cndmask_b32_e32 v10, v15, v11, vcc_lo
	v_cmp_ne_u32_e32 vcc_lo, 0, v7
	v_cndmask_b32_e32 v15, v9, v8, vcc_lo
	v_cndmask_b32_e32 v14, v4, v10, vcc_lo
.LBB0_4:                                ;   in Loop: Header=BB0_2 Depth=1
	s_andn2_saveexec_b32 s0, s1
	s_cbranch_execz .LBB0_6
; %bb.5:                                ;   in Loop: Header=BB0_2 Depth=1
	v_cvt_f32_u32_e32 v4, s24
	s_sub_i32 s1, 0, s24
	v_mov_b32_e32 v15, v3
	v_rcp_iflag_f32_e32 v4, v4
	v_mul_f32_e32 v4, 0x4f7ffffe, v4
	v_cvt_u32_f32_e32 v4, v4
	v_mul_lo_u32 v7, s1, v4
	v_mul_hi_u32 v7, v4, v7
	v_add_nc_u32_e32 v4, v4, v7
	v_mul_hi_u32 v4, v5, v4
	v_mul_lo_u32 v7, v4, s24
	v_add_nc_u32_e32 v8, 1, v4
	v_sub_nc_u32_e32 v7, v5, v7
	v_subrev_nc_u32_e32 v9, s24, v7
	v_cmp_le_u32_e32 vcc_lo, s24, v7
	v_cndmask_b32_e32 v7, v7, v9, vcc_lo
	v_cndmask_b32_e32 v4, v4, v8, vcc_lo
	v_cmp_le_u32_e32 vcc_lo, s24, v7
	v_add_nc_u32_e32 v8, 1, v4
	v_cndmask_b32_e32 v14, v4, v8, vcc_lo
.LBB0_6:                                ;   in Loop: Header=BB0_2 Depth=1
	s_or_b32 exec_lo, exec_lo, s0
	v_mul_lo_u32 v4, v15, s24
	v_mul_lo_u32 v9, v14, s25
	s_load_dwordx2 s[0:1], s[6:7], 0x0
	v_mad_u64_u32 v[7:8], null, v14, s24, 0
	s_load_dwordx2 s[24:25], s[2:3], 0x0
	s_add_u32 s22, s22, 1
	s_addc_u32 s23, s23, 0
	s_add_u32 s2, s2, 8
	s_addc_u32 s3, s3, 0
	s_add_u32 s6, s6, 8
	v_add3_u32 v4, v8, v9, v4
	v_sub_co_u32 v5, vcc_lo, v5, v7
	s_addc_u32 s7, s7, 0
	s_add_u32 s20, s20, 8
	v_sub_co_ci_u32_e32 v4, vcc_lo, v6, v4, vcc_lo
	s_addc_u32 s21, s21, 0
	s_waitcnt lgkmcnt(0)
	v_mul_lo_u32 v6, s0, v4
	v_mul_lo_u32 v7, s1, v5
	v_mad_u64_u32 v[1:2], null, s0, v5, v[1:2]
	v_mul_lo_u32 v4, s24, v4
	v_mul_lo_u32 v8, s25, v5
	v_mad_u64_u32 v[12:13], null, s24, v5, v[12:13]
	v_cmp_ge_u64_e64 s0, s[22:23], s[14:15]
	v_add3_u32 v2, v7, v2, v6
	v_add3_u32 v13, v8, v13, v4
	s_and_b32 vcc_lo, exec_lo, s0
	s_cbranch_vccnz .LBB0_9
; %bb.7:                                ;   in Loop: Header=BB0_2 Depth=1
	v_mov_b32_e32 v5, v14
	v_mov_b32_e32 v6, v15
	s_branch .LBB0_2
.LBB0_8:
	v_mov_b32_e32 v13, v2
	v_mov_b32_e32 v15, v6
	;; [unrolled: 1-line block ×4, first 2 shown]
.LBB0_9:
	s_load_dwordx2 s[0:1], s[4:5], 0x28
	v_mul_hi_u32 v37, 0x1e573ad, v0
	s_lshl_b64 s[4:5], s[14:15], 3
                                        ; implicit-def: $vgpr22
	s_add_u32 s2, s18, s4
	s_addc_u32 s3, s19, s5
	s_waitcnt lgkmcnt(0)
	v_cmp_gt_u64_e32 vcc_lo, s[0:1], v[14:15]
	v_cmp_le_u64_e64 s0, s[0:1], v[14:15]
	s_and_saveexec_b32 s1, s0
	s_xor_b32 s0, exec_lo, s1
; %bb.10:
	v_mul_u32_u24_e32 v1, 0x87, v37
                                        ; implicit-def: $vgpr37
	v_sub_nc_u32_e32 v22, v0, v1
                                        ; implicit-def: $vgpr0
                                        ; implicit-def: $vgpr1_vgpr2
; %bb.11:
	s_or_saveexec_b32 s1, s0
                                        ; implicit-def: $vgpr19
                                        ; implicit-def: $vgpr17
                                        ; implicit-def: $vgpr20
                                        ; implicit-def: $vgpr18
                                        ; implicit-def: $vgpr3
                                        ; implicit-def: $vgpr9
                                        ; implicit-def: $vgpr24
                                        ; implicit-def: $vgpr23
                                        ; implicit-def: $vgpr27
                                        ; implicit-def: $vgpr21
                                        ; implicit-def: $vgpr4
                                        ; implicit-def: $vgpr8
                                        ; implicit-def: $vgpr28
                                        ; implicit-def: $vgpr25
                                        ; implicit-def: $vgpr31
                                        ; implicit-def: $vgpr26
                                        ; implicit-def: $vgpr5
                                        ; implicit-def: $vgpr10
                                        ; implicit-def: $vgpr32
                                        ; implicit-def: $vgpr29
                                        ; implicit-def: $vgpr34
                                        ; implicit-def: $vgpr30
                                        ; implicit-def: $vgpr6
                                        ; implicit-def: $vgpr11
                                        ; implicit-def: $vgpr36
                                        ; implicit-def: $vgpr33
                                        ; implicit-def: $vgpr38
                                        ; implicit-def: $vgpr35
                                        ; implicit-def: $vgpr7
                                        ; implicit-def: $vgpr16
	s_xor_b32 exec_lo, exec_lo, s1
	s_cbranch_execz .LBB0_13
; %bb.12:
	s_add_u32 s4, s16, s4
	s_addc_u32 s5, s17, s5
	v_lshlrev_b64 v[1:2], 2, v[1:2]
	s_load_dwordx2 s[4:5], s[4:5], 0x0
	s_waitcnt lgkmcnt(0)
	v_mul_lo_u32 v5, s5, v14
	v_mul_lo_u32 v6, s4, v15
	v_mad_u64_u32 v[3:4], null, s4, v14, 0
	v_add3_u32 v4, v4, v6, v5
	v_mul_u32_u24_e32 v5, 0x87, v37
	v_lshlrev_b64 v[3:4], 2, v[3:4]
	v_sub_nc_u32_e32 v22, v0, v5
	v_add_co_u32 v0, s0, s8, v3
	v_add_co_ci_u32_e64 v3, s0, s9, v4, s0
	v_lshlrev_b32_e32 v4, 2, v22
	v_add_co_u32 v0, s0, v0, v1
	v_add_co_ci_u32_e64 v1, s0, v3, v2, s0
	v_add_co_u32 v0, s0, v0, v4
	v_add_co_ci_u32_e64 v1, s0, 0, v1, s0
	;; [unrolled: 2-line block ×5, first 2 shown]
	s_clause 0xe
	global_load_dword v16, v[0:1], off
	global_load_dword v11, v[0:1], off offset:540
	global_load_dword v10, v[0:1], off offset:1080
	;; [unrolled: 1-line block ×14, first 2 shown]
	s_waitcnt vmcnt(14)
	v_lshrrev_b32_e32 v7, 16, v16
	s_waitcnt vmcnt(13)
	v_lshrrev_b32_e32 v6, 16, v11
	;; [unrolled: 2-line block ×15, first 2 shown]
.LBB0_13:
	s_or_b32 exec_lo, exec_lo, s1
	v_add_f16_e32 v0, v33, v35
	v_add_f16_e32 v37, v36, v38
	v_add_f16_e32 v1, v35, v16
	v_sub_f16_e32 v2, v38, v36
	v_sub_f16_e32 v35, v35, v33
	v_fmac_f16_e32 v16, -0.5, v0
	v_add_f16_e32 v0, v38, v7
	v_fmac_f16_e32 v7, -0.5, v37
	v_add_f16_e32 v1, v33, v1
	s_load_dwordx2 s[2:3], s[2:3], 0x0
	v_fmamk_f16 v33, v2, 0x3aee, v16
	v_fmac_f16_e32 v16, 0xbaee, v2
	v_add_f16_e32 v0, v36, v0
	v_add_f16_e32 v2, v29, v30
	v_fmamk_f16 v44, v35, 0xbaee, v7
	v_add_f16_e32 v36, v30, v11
	v_fmac_f16_e32 v7, 0x3aee, v35
	v_add_f16_e32 v35, v32, v34
	v_fmac_f16_e32 v11, -0.5, v2
	v_sub_f16_e32 v2, v34, v32
	v_add_f16_e32 v36, v29, v36
	v_add_f16_e32 v34, v34, v6
	v_fmac_f16_e32 v6, -0.5, v35
	v_sub_f16_e32 v29, v30, v29
	v_fmamk_f16 v30, v2, 0x3aee, v11
	v_fmac_f16_e32 v11, 0xbaee, v2
	v_add_f16_e32 v2, v32, v34
	v_add_f16_e32 v32, v25, v26
	v_fmamk_f16 v45, v29, 0xbaee, v6
	v_add_f16_e32 v34, v26, v10
	v_fmac_f16_e32 v6, 0x3aee, v29
	v_add_f16_e32 v29, v28, v31
	v_fmac_f16_e32 v10, -0.5, v32
	v_sub_f16_e32 v32, v31, v28
	v_add_f16_e32 v34, v25, v34
	v_add_f16_e32 v31, v31, v5
	v_fmac_f16_e32 v5, -0.5, v29
	v_sub_f16_e32 v25, v26, v25
	v_add_f16_e32 v29, v23, v21
	v_fmamk_f16 v26, v32, 0x3aee, v10
	v_add_f16_e32 v28, v28, v31
	v_fmac_f16_e32 v10, 0xbaee, v32
	v_fmamk_f16 v31, v25, 0xbaee, v5
	v_fmac_f16_e32 v5, 0x3aee, v25
	v_add_f16_e32 v25, v24, v27
	v_add_f16_e32 v32, v21, v8
	v_fmac_f16_e32 v8, -0.5, v29
	v_sub_f16_e32 v29, v27, v24
	v_add_f16_e32 v27, v27, v4
	v_fmac_f16_e32 v4, -0.5, v25
	v_sub_f16_e32 v21, v21, v23
	v_add_f16_e32 v32, v23, v32
	v_fmamk_f16 v23, v29, 0x3aee, v8
	v_add_f16_e32 v25, v24, v27
	v_add_f16_e32 v24, v17, v18
	v_fmamk_f16 v27, v21, 0xbaee, v4
	v_fmac_f16_e32 v4, 0x3aee, v21
	v_add_f16_e32 v21, v19, v20
	v_fmac_f16_e32 v8, 0xbaee, v29
	v_add_f16_e32 v29, v18, v9
	v_fmac_f16_e32 v9, -0.5, v24
	v_sub_f16_e32 v24, v20, v19
	v_add_f16_e32 v20, v20, v3
	v_fmac_f16_e32 v3, -0.5, v21
	v_mad_u32_u24 v21, v22, 6, 0
	v_add_f16_e32 v29, v17, v29
	v_sub_f16_e32 v17, v18, v17
	ds_write_b16 v21, v1
	ds_write_b16 v21, v33 offset:2
	ds_write_b16 v21, v16 offset:4
	v_lshlrev_b32_e32 v1, 2, v22
	v_fmamk_f16 v18, v24, 0x3aee, v9
	v_fmac_f16_e32 v9, 0xbaee, v24
	v_fmamk_f16 v47, v17, 0xbaee, v3
	v_fmac_f16_e32 v3, 0x3aee, v17
	ds_write_b16 v21, v36 offset:810
	ds_write_b16 v21, v30 offset:812
	;; [unrolled: 1-line block ×11, first 2 shown]
	v_sub_nc_u32_e32 v23, v21, v1
	v_and_b32_e32 v17, 0xff, v22
	v_add_f16_e32 v46, v19, v20
	ds_write_b16 v21, v9 offset:3244
	s_waitcnt lgkmcnt(0)
	s_barrier
	buffer_gl0_inv
	ds_read_u16 v34, v23 offset:1890
	ds_read_u16 v20, v23
	ds_read_u16 v19, v23 offset:270
	ds_read_u16 v11, v23 offset:540
	;; [unrolled: 1-line block ×13, first 2 shown]
	s_waitcnt lgkmcnt(0)
	s_barrier
	buffer_gl0_inv
	ds_write_b16 v21, v0
	ds_write_b16 v21, v44 offset:2
	v_mul_lo_u16 v0, 0xab, v17
	v_add_nc_u32_e32 v24, 0x87, v22
	ds_write_b16 v21, v7 offset:4
	ds_write_b16 v21, v2 offset:810
	;; [unrolled: 1-line block ×7, first 2 shown]
	v_lshrrev_b16 v32, 9, v0
	v_mov_b32_e32 v0, 0xaaab
	ds_write_b16 v21, v25 offset:2430
	ds_write_b16 v21, v27 offset:2432
	v_add_nc_u32_e32 v25, 0x10e, v22
	v_add_nc_u32_e32 v26, 0x195, v22
	v_mul_lo_u16 v1, v32, 3
	v_mul_u32_u24_sdwa v2, v24, v0 dst_sel:DWORD dst_unused:UNUSED_PAD src0_sel:WORD_0 src1_sel:DWORD
	ds_write_b16 v21, v3 offset:3244
	v_add_nc_u32_e32 v27, 0x21c, v22
	v_mul_u32_u24_sdwa v3, v26, v0 dst_sel:DWORD dst_unused:UNUSED_PAD src0_sel:WORD_0 src1_sel:DWORD
	v_sub_nc_u16 v44, v22, v1
	v_lshrrev_b32_e32 v33, 17, v2
	v_mul_u32_u24_sdwa v1, v25, v0 dst_sel:DWORD dst_unused:UNUSED_PAD src0_sel:WORD_0 src1_sel:DWORD
	ds_write_b16 v21, v46 offset:3240
	v_lshrrev_b32_e32 v46, 17, v3
	v_mul_u32_u24_sdwa v0, v27, v0 dst_sel:DWORD dst_unused:UNUSED_PAD src0_sel:WORD_0 src1_sel:DWORD
	v_mov_b32_e32 v28, 3
	v_lshrrev_b32_e32 v45, 17, v1
	v_mul_lo_u16 v1, v33, 3
	ds_write_b16 v21, v47 offset:3242
	v_lshrrev_b32_e32 v50, 17, v0
	v_lshlrev_b32_sdwa v2, v28, v44 dst_sel:DWORD dst_unused:UNUSED_PAD src0_sel:DWORD src1_sel:BYTE_0
	v_mul_lo_u16 v3, v45, 3
	v_sub_nc_u16 v47, v24, v1
	v_mul_lo_u16 v1, v46, 3
	ds_write_b16 v21, v4 offset:2434
	s_waitcnt lgkmcnt(0)
	v_sub_nc_u16 v48, v25, v3
	v_lshlrev_b32_sdwa v0, v28, v47 dst_sel:DWORD dst_unused:UNUSED_PAD src0_sel:DWORD src1_sel:WORD_0
	v_sub_nc_u16 v49, v26, v1
	v_mul_lo_u16 v1, v50, 3
	s_barrier
	buffer_gl0_inv
	s_clause 0x1
	global_load_dwordx2 v[6:7], v2, s[12:13]
	global_load_dwordx2 v[4:5], v0, s[12:13]
	v_lshlrev_b32_sdwa v2, v28, v48 dst_sel:DWORD dst_unused:UNUSED_PAD src0_sel:DWORD src1_sel:WORD_0
	v_sub_nc_u16 v51, v27, v1
	v_lshlrev_b32_sdwa v0, v28, v49 dst_sel:DWORD dst_unused:UNUSED_PAD src0_sel:DWORD src1_sel:WORD_0
	s_clause 0x1
	global_load_dwordx2 v[8:9], v2, s[12:13]
	global_load_dwordx2 v[2:3], v0, s[12:13]
	v_lshlrev_b32_sdwa v0, v28, v51 dst_sel:DWORD dst_unused:UNUSED_PAD src0_sel:DWORD src1_sel:WORD_0
	v_mov_b32_e32 v16, 0xe38f
	v_mul_lo_u16 v21, v17, 57
	v_mov_b32_e32 v29, 1
	v_mov_b32_e32 v53, 18
	global_load_dwordx2 v[0:1], v0, s[12:13]
	v_mul_u32_u24_sdwa v31, v24, v16 dst_sel:DWORD dst_unused:UNUSED_PAD src0_sel:WORD_0 src1_sel:DWORD
	v_mul_u32_u24_sdwa v52, v25, v16 dst_sel:DWORD dst_unused:UNUSED_PAD src0_sel:WORD_0 src1_sel:DWORD
	v_lshrrev_b16 v30, 9, v21
	v_mul_u32_u24_sdwa v53, v32, v53 dst_sel:DWORD dst_unused:UNUSED_PAD src0_sel:WORD_0 src1_sel:DWORD
	v_mul_u32_u24_e32 v68, 18, v33
	v_lshrrev_b32_e32 v21, 19, v31
	v_lshrrev_b32_e32 v31, 19, v52
	ds_read_u16 v52, v23 offset:1620
	ds_read_u16 v54, v23 offset:1890
	;; [unrolled: 1-line block ×9, first 2 shown]
	ds_read_u16 v62, v23
	ds_read_u16 v63, v23 offset:270
	ds_read_u16 v64, v23 offset:540
	;; [unrolled: 1-line block ×5, first 2 shown]
	v_mul_u32_u24_e32 v45, 18, v45
	v_mul_u32_u24_e32 v46, 18, v46
	v_lshlrev_b32_sdwa v44, v29, v44 dst_sel:DWORD dst_unused:UNUSED_PAD src0_sel:DWORD src1_sel:BYTE_0
	v_lshlrev_b32_sdwa v47, v29, v47 dst_sel:DWORD dst_unused:UNUSED_PAD src0_sel:DWORD src1_sel:WORD_0
	v_lshlrev_b32_sdwa v48, v29, v48 dst_sel:DWORD dst_unused:UNUSED_PAD src0_sel:DWORD src1_sel:WORD_0
	;; [unrolled: 1-line block ×3, first 2 shown]
	v_mul_u32_u24_e32 v50, 18, v50
	v_lshlrev_b32_sdwa v51, v29, v51 dst_sel:DWORD dst_unused:UNUSED_PAD src0_sel:DWORD src1_sel:WORD_0
	v_add3_u32 v53, 0, v53, v44
	v_add3_u32 v68, 0, v68, v47
	;; [unrolled: 1-line block ×5, first 2 shown]
	v_mul_lo_u16 v32, v30, 9
	v_mul_lo_u16 v69, v21, 9
	v_mov_b32_e32 v16, 4
	s_waitcnt vmcnt(0) lgkmcnt(0)
	s_barrier
	v_sub_nc_u16 v33, v22, v32
	buffer_gl0_inv
	v_sub_nc_u16 v32, v24, v69
	v_mul_lo_u16 v17, 0x6d, v17
	v_cmp_gt_u32_e64 s0, 0x5a, v22
	v_lshlrev_b32_sdwa v69, v16, v33 dst_sel:DWORD dst_unused:UNUSED_PAD src0_sel:DWORD src1_sel:BYTE_0
	v_lshlrev_b32_sdwa v33, v29, v33 dst_sel:DWORD dst_unused:UNUSED_PAD src0_sel:DWORD src1_sel:BYTE_0
	v_lshrrev_b16 v17, 8, v17
	v_mul_f16_sdwa v44, v66, v6 dst_sel:DWORD dst_unused:UNUSED_PAD src0_sel:DWORD src1_sel:WORD_1
	v_mul_f16_sdwa v45, v42, v6 dst_sel:DWORD dst_unused:UNUSED_PAD src0_sel:DWORD src1_sel:WORD_1
	;; [unrolled: 1-line block ×15, first 2 shown]
	v_fma_f16 v42, v42, v6, -v44
	v_mul_f16_sdwa v44, v37, v3 dst_sel:DWORD dst_unused:UNUSED_PAD src0_sel:DWORD src1_sel:WORD_1
	v_fmac_f16_e32 v45, v66, v6
	v_mul_f16_sdwa v6, v61, v0 dst_sel:DWORD dst_unused:UNUSED_PAD src0_sel:DWORD src1_sel:WORD_1
	v_fma_f16 v43, v43, v7, -v46
	v_mul_f16_sdwa v46, v39, v0 dst_sel:DWORD dst_unused:UNUSED_PAD src0_sel:DWORD src1_sel:WORD_1
	v_fmac_f16_e32 v47, v60, v7
	v_mul_f16_sdwa v7, v59, v1 dst_sel:DWORD dst_unused:UNUSED_PAD src0_sel:DWORD src1_sel:WORD_1
	v_fma_f16 v40, v40, v4, -v48
	v_fmac_f16_e32 v51, v52, v4
	v_fma_f16 v4, v41, v5, -v71
	v_mul_f16_sdwa v60, v36, v1 dst_sel:DWORD dst_unused:UNUSED_PAD src0_sel:DWORD src1_sel:WORD_1
	v_fmac_f16_e32 v72, v56, v5
	v_fma_f16 v5, v34, v8, -v73
	v_fmac_f16_e32 v74, v54, v8
	v_fma_f16 v8, v38, v9, -v75
	;; [unrolled: 2-line block ×6, first 2 shown]
	v_add_f16_e32 v6, v42, v43
	v_add_f16_e32 v36, v45, v47
	;; [unrolled: 1-line block ×3, first 2 shown]
	v_fmac_f16_e32 v60, v59, v1
	v_add_f16_e32 v1, v20, v42
	v_add_f16_e32 v48, v5, v8
	;; [unrolled: 1-line block ×6, first 2 shown]
	v_sub_f16_e32 v35, v45, v47
	v_fmac_f16_e32 v20, -0.5, v6
	v_add_f16_e32 v37, v19, v40
	v_add_f16_e32 v7, v62, v45
	v_sub_f16_e32 v34, v42, v43
	v_sub_f16_e32 v41, v51, v72
	v_add_f16_e32 v42, v51, v72
	v_add_f16_e32 v61, v18, v3
	v_fmac_f16_e32 v62, -0.5, v36
	v_fmac_f16_e32 v19, -0.5, v38
	v_add_f16_e32 v39, v63, v51
	v_add_f16_e32 v45, v11, v5
	;; [unrolled: 1-line block ×3, first 2 shown]
	v_sub_f16_e32 v5, v5, v8
	v_sub_f16_e32 v52, v74, v76
	v_add_f16_e32 v55, v10, v9
	v_add_f16_e32 v57, v65, v78
	v_sub_f16_e32 v9, v9, v2
	v_sub_f16_e32 v58, v78, v44
	v_add_f16_e32 v71, v67, v46
	v_add_f16_e32 v73, v46, v60
	v_sub_f16_e32 v46, v46, v60
	v_add_f16_e32 v1, v1, v43
	v_fmac_f16_e32 v11, -0.5, v48
	v_fmac_f16_e32 v64, -0.5, v54
	;; [unrolled: 1-line block ×5, first 2 shown]
	v_fmamk_f16 v38, v35, 0x3aee, v20
	v_fmac_f16_e32 v20, 0xbaee, v35
	v_sub_f16_e32 v40, v40, v4
	v_add_f16_e32 v4, v37, v4
	v_sub_f16_e32 v3, v3, v0
	v_fmac_f16_e32 v63, -0.5, v42
	v_add_f16_e32 v0, v61, v0
	v_fmamk_f16 v35, v34, 0xbaee, v62
	v_fmac_f16_e32 v62, 0x3aee, v34
	v_fmamk_f16 v34, v41, 0x3aee, v19
	v_add_f16_e32 v6, v7, v47
	v_add_f16_e32 v7, v39, v72
	;; [unrolled: 1-line block ×4, first 2 shown]
	v_fmac_f16_e32 v67, -0.5, v73
	v_fmac_f16_e32 v19, 0xbaee, v41
	v_fmamk_f16 v39, v52, 0x3aee, v11
	v_fmac_f16_e32 v11, 0xbaee, v52
	v_fmamk_f16 v52, v5, 0xbaee, v64
	;; [unrolled: 2-line block ×5, first 2 shown]
	v_fmac_f16_e32 v18, 0xbaee, v46
	ds_write_b16 v53, v1
	ds_write_b16 v53, v38 offset:6
	ds_write_b16 v53, v20 offset:12
	ds_write_b16 v68, v4
	ds_write_b16 v68, v34 offset:6
	ds_write_b16 v68, v19 offset:12
	;; [unrolled: 3-line block ×5, first 2 shown]
	v_mul_lo_u16 v0, v31, 9
	v_fmamk_f16 v54, v40, 0xbaee, v63
	v_add_f16_e32 v36, v51, v76
	v_add_f16_e32 v37, v57, v44
	;; [unrolled: 1-line block ×3, first 2 shown]
	v_fmac_f16_e32 v63, 0x3aee, v40
	v_fmamk_f16 v56, v3, 0xbaee, v67
	v_fmac_f16_e32 v67, 0x3aee, v3
	s_waitcnt lgkmcnt(0)
	s_barrier
	buffer_gl0_inv
	ds_read_u16 v20, v23
	ds_read_u16 v18, v23 offset:270
	ds_read_u16 v40, v23 offset:1890
	;; [unrolled: 1-line block ×14, first 2 shown]
	s_waitcnt lgkmcnt(0)
	s_barrier
	buffer_gl0_inv
	ds_write_b16 v53, v6
	ds_write_b16 v53, v35 offset:6
	ds_write_b16 v53, v62 offset:12
	ds_write_b16 v68, v7
	ds_write_b16 v68, v54 offset:6
	ds_write_b16 v68, v63 offset:12
	;; [unrolled: 3-line block ×5, first 2 shown]
	v_sub_nc_u16 v49, v25, v0
	v_lshlrev_b32_sdwa v1, v16, v32 dst_sel:DWORD dst_unused:UNUSED_PAD src0_sel:DWORD src1_sel:WORD_0
	s_waitcnt lgkmcnt(0)
	s_barrier
	buffer_gl0_inv
	global_load_dwordx4 v[8:11], v69, s[12:13] offset:24
	v_lshlrev_b32_sdwa v0, v16, v49 dst_sel:DWORD dst_unused:UNUSED_PAD src0_sel:DWORD src1_sel:WORD_0
	global_load_dwordx4 v[4:7], v1, s[12:13] offset:24
	v_sub_nc_u16 v35, v22, v17
	v_mov_b32_e32 v36, 0x2d83
	v_mov_b32_e32 v51, 0x5a
	global_load_dwordx4 v[0:3], v0, s[12:13] offset:24
	v_mul_u32_u24_e32 v31, 0x5a, v31
	v_lshrrev_b16 v35, 1, v35
	v_mul_u32_u24_sdwa v37, v24, v36 dst_sel:DWORD dst_unused:UNUSED_PAD src0_sel:WORD_0 src1_sel:DWORD
	v_mul_u32_u24_sdwa v50, v25, v36 dst_sel:DWORD dst_unused:UNUSED_PAD src0_sel:WORD_0 src1_sel:DWORD
	v_lshlrev_b32_sdwa v32, v29, v32 dst_sel:DWORD dst_unused:UNUSED_PAD src0_sel:DWORD src1_sel:WORD_0
	v_and_b32_e32 v35, 0x7f, v35
	v_lshrrev_b32_e32 v36, 19, v37
	v_lshrrev_b32_e32 v37, 19, v50
	v_mul_u32_u24_sdwa v50, v30, v51 dst_sel:DWORD dst_unused:UNUSED_PAD src0_sel:WORD_0 src1_sel:DWORD
	v_add_nc_u16 v17, v35, v17
	v_add3_u32 v50, 0, v50, v33
	v_lshrrev_b16 v30, 5, v17
	v_mul_u32_u24_e32 v17, 0x5a, v21
	v_mul_lo_u16 v21, v36, 45
	v_mul_lo_u16 v51, v30, 45
	v_add3_u32 v17, 0, v17, v32
	v_sub_nc_u16 v35, v24, v21
	v_lshlrev_b32_sdwa v21, v29, v49 dst_sel:DWORD dst_unused:UNUSED_PAD src0_sel:DWORD src1_sel:WORD_0
	ds_read_u16 v32, v23 offset:810
	v_sub_nc_u16 v33, v22, v51
	v_add3_u32 v21, 0, v31, v21
	ds_read_u16 v31, v23 offset:1620
	ds_read_u16 v49, v23 offset:2430
	;; [unrolled: 1-line block ×11, first 2 shown]
	ds_read_u16 v61, v23
	ds_read_u16 v62, v23 offset:270
	ds_read_u16 v63, v23 offset:540
	v_lshlrev_b32_sdwa v51, v16, v33 dst_sel:DWORD dst_unused:UNUSED_PAD src0_sel:DWORD src1_sel:BYTE_0
	s_waitcnt vmcnt(0) lgkmcnt(0)
	s_barrier
	buffer_gl0_inv
	v_lshlrev_b32_sdwa v33, v29, v33 dst_sel:DWORD dst_unused:UNUSED_PAD src0_sel:DWORD src1_sel:BYTE_0
	v_mul_f16_sdwa v64, v32, v8 dst_sel:DWORD dst_unused:UNUSED_PAD src0_sel:DWORD src1_sel:WORD_1
	v_mul_f16_sdwa v65, v48, v8 dst_sel:DWORD dst_unused:UNUSED_PAD src0_sel:DWORD src1_sel:WORD_1
	;; [unrolled: 1-line block ×16, first 2 shown]
	v_fma_f16 v48, v48, v8, -v64
	v_mul_f16_sdwa v64, v56, v0 dst_sel:DWORD dst_unused:UNUSED_PAD src0_sel:DWORD src1_sel:WORD_1
	v_fmac_f16_e32 v65, v32, v8
	v_mul_f16_sdwa v8, v38, v0 dst_sel:DWORD dst_unused:UNUSED_PAD src0_sel:DWORD src1_sel:WORD_1
	v_fma_f16 v32, v46, v9, -v66
	v_mul_f16_sdwa v46, v60, v1 dst_sel:DWORD dst_unused:UNUSED_PAD src0_sel:DWORD src1_sel:WORD_1
	v_fmac_f16_e32 v67, v31, v9
	v_mul_f16_sdwa v9, v42, v1 dst_sel:DWORD dst_unused:UNUSED_PAD src0_sel:DWORD src1_sel:WORD_1
	;; [unrolled: 4-line block ×4, first 2 shown]
	v_fma_f16 v43, v43, v4, -v72
	v_fmac_f16_e32 v73, v53, v4
	v_fma_f16 v4, v40, v5, -v74
	v_fmac_f16_e32 v75, v54, v5
	;; [unrolled: 2-line block ×7, first 2 shown]
	v_fma_f16 v2, v34, v3, -v49
	v_add_f16_e32 v34, v32, v31
	v_sub_f16_e32 v38, v48, v32
	v_sub_f16_e32 v39, v45, v31
	v_add_f16_e32 v40, v48, v45
	v_sub_f16_e32 v41, v32, v48
	v_sub_f16_e32 v42, v31, v45
	;; [unrolled: 1-line block ×4, first 2 shown]
	v_fmac_f16_e32 v11, v58, v3
	v_add_f16_e32 v46, v67, v69
	v_add_f16_e32 v52, v65, v71
	v_sub_f16_e32 v53, v67, v65
	v_sub_f16_e32 v54, v69, v71
	;; [unrolled: 1-line block ×4, first 2 shown]
	v_add_f16_e32 v57, v4, v5
	v_add_f16_e32 v58, v43, v6
	v_sub_f16_e32 v60, v4, v43
	v_sub_f16_e32 v64, v5, v6
	;; [unrolled: 1-line block ×4, first 2 shown]
	v_add_f16_e32 v70, v75, v77
	v_add_f16_e32 v72, v73, v79
	v_sub_f16_e32 v76, v75, v73
	v_sub_f16_e32 v78, v77, v79
	v_add_f16_e32 v3, v20, v48
	v_add_f16_e32 v38, v38, v39
	v_sub_f16_e32 v39, v7, v0
	v_fma_f16 v34, -0.5, v34, v20
	v_fmac_f16_e32 v20, -0.5, v40
	v_sub_f16_e32 v40, v2, v1
	v_add_f16_e32 v41, v41, v42
	v_add_f16_e32 v42, v0, v1
	;; [unrolled: 1-line block ×7, first 2 shown]
	v_fma_f16 v80, -0.5, v46, v61
	v_fmac_f16_e32 v61, -0.5, v52
	v_add_f16_e32 v46, v19, v7
	v_add_f16_e32 v52, v53, v54
	v_sub_f16_e32 v53, v0, v7
	v_add_f16_e32 v54, v55, v56
	v_sub_f16_e32 v55, v1, v2
	v_fma_f16 v56, -0.5, v57, v18
	v_fmac_f16_e32 v18, -0.5, v58
	v_sub_f16_e32 v57, v8, v9
	v_add_f16_e32 v58, v60, v64
	v_sub_f16_e32 v60, v11, v10
	v_add_f16_e32 v64, v66, v68
	v_fma_f16 v68, -0.5, v70, v62
	v_fmac_f16_e32 v62, -0.5, v72
	v_add_f16_e32 v72, v76, v78
	v_add_f16_e32 v76, v63, v8
	;; [unrolled: 1-line block ×5, first 2 shown]
	v_sub_f16_e32 v40, v9, v8
	v_fma_f16 v42, -0.5, v42, v19
	v_fmac_f16_e32 v19, -0.5, v49
	v_sub_f16_e32 v49, v10, v11
	v_add_f16_e32 v53, v53, v55
	v_sub_f16_e32 v55, v32, v31
	v_add_f16_e32 v57, v57, v60
	;; [unrolled: 2-line block ×4, first 2 shown]
	v_sub_f16_e32 v67, v9, v10
	v_sub_f16_e32 v65, v65, v71
	v_add_f16_e32 v0, v46, v0
	v_add_f16_e32 v9, v76, v9
	v_fma_f16 v66, -0.5, v66, v63
	v_fmac_f16_e32 v63, -0.5, v70
	v_sub_f16_e32 v70, v4, v5
	v_sub_f16_e32 v48, v48, v45
	v_add_f16_e32 v4, v59, v4
	v_add_f16_e32 v59, v74, v75
	v_add_f16_e32 v40, v40, v49
	v_sub_f16_e32 v49, v75, v77
	v_sub_f16_e32 v73, v73, v79
	v_sub_f16_e32 v8, v8, v11
	v_sub_f16_e32 v43, v43, v6
	v_sub_f16_e32 v7, v7, v2
	v_add_f16_e32 v0, v0, v1
	v_add_f16_e32 v1, v9, v10
	v_fmamk_f16 v9, v65, 0x3b9c, v34
	v_fmac_f16_e32 v34, 0xbb9c, v65
	v_add_f16_e32 v4, v4, v5
	v_add_f16_e32 v5, v59, v77
	v_fmamk_f16 v59, v48, 0xbb9c, v80
	v_add_f16_e32 v3, v3, v31
	v_add_f16_e32 v31, v44, v69
	v_fmamk_f16 v10, v60, 0xbb9c, v20
	v_fmamk_f16 v69, v55, 0x3b9c, v61
	v_fmac_f16_e32 v20, 0x3b9c, v60
	v_fmac_f16_e32 v61, 0xbb9c, v55
	;; [unrolled: 1-line block ×3, first 2 shown]
	v_fmamk_f16 v44, v73, 0x3b9c, v56
	v_fmamk_f16 v46, v49, 0xbb9c, v18
	;; [unrolled: 1-line block ×3, first 2 shown]
	v_fmac_f16_e32 v42, 0xbb9c, v8
	v_fmac_f16_e32 v56, 0xbb9c, v73
	;; [unrolled: 1-line block ×3, first 2 shown]
	v_fmamk_f16 v74, v43, 0xbb9c, v68
	v_fmac_f16_e32 v68, 0x3b9c, v43
	v_fmamk_f16 v75, v70, 0x3b9c, v62
	v_fmac_f16_e32 v62, 0xbb9c, v70
	;; [unrolled: 2-line block ×4, first 2 shown]
	v_fmac_f16_e32 v9, 0x38b4, v60
	v_fmac_f16_e32 v34, 0xb8b4, v60
	v_fmamk_f16 v60, v32, 0x3b9c, v63
	v_fmac_f16_e32 v63, 0xbb9c, v32
	v_fmac_f16_e32 v59, 0xb8b4, v55
	;; [unrolled: 1-line block ×10, first 2 shown]
	v_add_f16_e32 v3, v3, v45
	v_add_f16_e32 v65, v31, v71
	v_fmac_f16_e32 v56, 0xb8b4, v49
	v_fmac_f16_e32 v18, 0xb8b4, v73
	v_fmac_f16_e32 v74, 0xb8b4, v70
	v_fmac_f16_e32 v68, 0x38b4, v70
	v_fmac_f16_e32 v75, 0xb8b4, v43
	v_fmac_f16_e32 v62, 0x38b4, v43
	v_fmac_f16_e32 v76, 0x38b4, v67
	v_fmac_f16_e32 v77, 0x38b4, v8
	v_fmac_f16_e32 v19, 0xb8b4, v8
	v_fmac_f16_e32 v78, 0xb8b4, v32
	v_fmac_f16_e32 v66, 0x38b4, v32
	v_fmac_f16_e32 v60, 0xb8b4, v7
	v_fmac_f16_e32 v63, 0x38b4, v7
	v_fmac_f16_e32 v9, 0x34f2, v38
	v_fmac_f16_e32 v59, 0x34f2, v47
	v_fmac_f16_e32 v10, 0x34f2, v41
	v_fmac_f16_e32 v69, 0x34f2, v52
	v_fmac_f16_e32 v20, 0x34f2, v41
	v_fmac_f16_e32 v61, 0x34f2, v52
	v_add_f16_e32 v1, v1, v11
	v_fmac_f16_e32 v34, 0x34f2, v38
	v_fmac_f16_e32 v80, 0x34f2, v47
	;; [unrolled: 1-line block ×5, first 2 shown]
	v_add_f16_e32 v4, v4, v6
	v_add_f16_e32 v5, v5, v79
	;; [unrolled: 1-line block ×3, first 2 shown]
	v_fmac_f16_e32 v56, 0x34f2, v54
	v_fmac_f16_e32 v18, 0x34f2, v58
	v_fmac_f16_e32 v74, 0x34f2, v64
	v_fmac_f16_e32 v68, 0x34f2, v64
	v_fmac_f16_e32 v75, 0x34f2, v72
	v_fmac_f16_e32 v62, 0x34f2, v72
	v_fmac_f16_e32 v76, 0x34f2, v39
	v_fmac_f16_e32 v77, 0x34f2, v53
	v_fmac_f16_e32 v19, 0x34f2, v53
	v_fmac_f16_e32 v78, 0x34f2, v57
	v_fmac_f16_e32 v66, 0x34f2, v57
	v_fmac_f16_e32 v60, 0x34f2, v40
	v_fmac_f16_e32 v63, 0x34f2, v40
	ds_write_b16 v50, v3
	ds_write_b16 v50, v9 offset:18
	ds_write_b16 v50, v10 offset:36
	ds_write_b16 v50, v20 offset:54
	ds_write_b16 v50, v34 offset:72
	ds_write_b16 v17, v4
	ds_write_b16 v17, v44 offset:18
	ds_write_b16 v17, v46 offset:36
	ds_write_b16 v17, v18 offset:54
	ds_write_b16 v17, v56 offset:72
	;; [unrolled: 5-line block ×3, first 2 shown]
	s_waitcnt lgkmcnt(0)
	s_barrier
	buffer_gl0_inv
	ds_read_u16 v34, v23
	ds_read_u16 v31, v23 offset:270
	ds_read_u16 v41, v23 offset:1890
	;; [unrolled: 1-line block ×14, first 2 shown]
	s_waitcnt lgkmcnt(0)
	s_barrier
	buffer_gl0_inv
	ds_write_b16 v50, v65
	ds_write_b16 v50, v59 offset:18
	ds_write_b16 v50, v69 offset:36
	ds_write_b16 v50, v61 offset:54
	ds_write_b16 v50, v80 offset:72
	ds_write_b16 v17, v5
	ds_write_b16 v17, v74 offset:18
	ds_write_b16 v17, v75 offset:36
	ds_write_b16 v17, v62 offset:54
	ds_write_b16 v17, v68 offset:72
	;; [unrolled: 5-line block ×3, first 2 shown]
	v_mul_lo_u16 v1, v37, 45
	s_waitcnt lgkmcnt(0)
	s_barrier
	buffer_gl0_inv
	global_load_dwordx4 v[8:11], v51, s[12:13] offset:168
	v_lshlrev_b32_sdwa v0, v16, v35 dst_sel:DWORD dst_unused:UNUSED_PAD src0_sel:DWORD src1_sel:WORD_0
	v_sub_nc_u16 v50, v25, v1
	v_mov_b32_e32 v17, 0
	v_mov_b32_e32 v53, 0x1c2
	v_mul_u32_u24_e32 v55, 0x1c2, v37
	global_load_dwordx4 v[4:7], v0, s[12:13] offset:168
	v_lshlrev_b32_sdwa v0, v16, v50 dst_sel:DWORD dst_unused:UNUSED_PAD src0_sel:DWORD src1_sel:WORD_0
	v_add_nc_u32_e32 v16, 0xffffffa6, v22
	v_mov_b32_e32 v21, v17
	v_lshlrev_b32_sdwa v35, v29, v35 dst_sel:DWORD dst_unused:UNUSED_PAD src0_sel:DWORD src1_sel:WORD_0
	v_lshlrev_b32_sdwa v50, v29, v50 dst_sel:DWORD dst_unused:UNUSED_PAD src0_sel:DWORD src1_sel:WORD_0
	global_load_dwordx4 v[0:3], v0, s[12:13] offset:168
	v_cndmask_b32_e64 v18, v16, v24, s0
	v_lshlrev_b32_e32 v16, 1, v22
	v_mul_u32_u24_sdwa v30, v30, v53 dst_sel:DWORD dst_unused:UNUSED_PAD src0_sel:WORD_0 src1_sel:DWORD
	ds_read_u16 v53, v23 offset:2430
	v_add3_u32 v50, 0, v55, v50
	v_lshlrev_b32_e32 v20, 1, v18
	v_lshlrev_b64 v[18:19], 2, v[16:17]
	v_add3_u32 v30, 0, v30, v33
	v_mov_b32_e32 v54, 0x91a3
	v_lshlrev_b64 v[51:52], 2, v[20:21]
	v_mul_u32_u24_e32 v21, 0x1c2, v36
	v_add_co_u32 v18, s0, s12, v18
	v_add_co_ci_u32_e64 v19, s0, s13, v19, s0
	v_add_co_u32 v36, s0, s12, v51
	ds_read_u16 v51, v23 offset:810
	v_add_co_ci_u32_e64 v37, s0, s13, v52, s0
	ds_read_u16 v52, v23 offset:1620
	v_add3_u32 v21, 0, v21, v35
	ds_read_u16 v35, v23 offset:3240
	ds_read_u16 v55, v23 offset:1080
	;; [unrolled: 1-line block ×9, first 2 shown]
	ds_read_u16 v62, v23
	ds_read_u16 v63, v23 offset:270
	ds_read_u16 v64, v23 offset:540
	s_waitcnt vmcnt(0) lgkmcnt(0)
	s_barrier
	buffer_gl0_inv
	v_mul_f16_sdwa v65, v51, v8 dst_sel:DWORD dst_unused:UNUSED_PAD src0_sel:DWORD src1_sel:WORD_1
	v_mul_f16_sdwa v66, v49, v8 dst_sel:DWORD dst_unused:UNUSED_PAD src0_sel:DWORD src1_sel:WORD_1
	;; [unrolled: 1-line block ×14, first 2 shown]
	v_fma_f16 v49, v49, v8, -v65
	v_mul_f16_sdwa v65, v58, v7 dst_sel:DWORD dst_unused:UNUSED_PAD src0_sel:DWORD src1_sel:WORD_1
	v_fmac_f16_e32 v66, v51, v8
	v_mul_f16_sdwa v8, v42, v7 dst_sel:DWORD dst_unused:UNUSED_PAD src0_sel:DWORD src1_sel:WORD_1
	v_fma_f16 v47, v47, v9, -v67
	v_mul_f16_sdwa v51, v57, v0 dst_sel:DWORD dst_unused:UNUSED_PAD src0_sel:DWORD src1_sel:WORD_1
	v_fmac_f16_e32 v68, v52, v9
	v_mul_f16_sdwa v9, v39, v0 dst_sel:DWORD dst_unused:UNUSED_PAD src0_sel:DWORD src1_sel:WORD_1
	;; [unrolled: 4-line block ×4, first 2 shown]
	v_mul_f16_sdwa v35, v59, v3 dst_sel:DWORD dst_unused:UNUSED_PAD src0_sel:DWORD src1_sel:WORD_1
	v_mul_f16_sdwa v67, v38, v3 dst_sel:DWORD dst_unused:UNUSED_PAD src0_sel:DWORD src1_sel:WORD_1
	v_fma_f16 v44, v44, v4, -v73
	v_fmac_f16_e32 v74, v55, v4
	v_fma_f16 v4, v41, v5, -v75
	v_fmac_f16_e32 v76, v33, v5
	;; [unrolled: 2-line block ×8, first 2 shown]
	v_add_f16_e32 v1, v47, v48
	v_sub_f16_e32 v3, v49, v47
	v_sub_f16_e32 v35, v46, v48
	v_add_f16_e32 v38, v49, v46
	v_sub_f16_e32 v40, v47, v49
	v_sub_f16_e32 v41, v48, v46
	;; [unrolled: 3-line block ×4, first 2 shown]
	v_sub_f16_e32 v56, v44, v4
	v_sub_f16_e32 v57, v6, v5
	v_add_f16_e32 v58, v4, v5
	v_add_f16_e32 v59, v44, v6
	v_sub_f16_e32 v61, v4, v44
	v_sub_f16_e32 v65, v5, v6
	;; [unrolled: 1-line block ×4, first 2 shown]
	v_add_f16_e32 v73, v76, v78
	v_add_f16_e32 v0, v34, v49
	;; [unrolled: 1-line block ×5, first 2 shown]
	v_sub_f16_e32 v35, v76, v74
	v_fma_f16 v79, -0.5, v1, v34
	v_fmac_f16_e32 v34, -0.5, v38
	v_sub_f16_e32 v1, v78, v8
	v_add_f16_e32 v38, v40, v41
	v_sub_f16_e32 v40, v7, v33
	v_add_f16_e32 v41, v43, v45
	v_sub_f16_e32 v43, v2, v39
	v_fma_f16 v42, -0.5, v42, v62
	v_fmac_f16_e32 v62, -0.5, v51
	v_add_f16_e32 v45, v33, v39
	v_add_f16_e32 v51, v52, v53
	;; [unrolled: 1-line block ×4, first 2 shown]
	v_fma_f16 v57, -0.5, v58, v31
	v_fmac_f16_e32 v31, -0.5, v59
	v_sub_f16_e32 v58, v33, v7
	v_add_f16_e32 v59, v61, v65
	v_sub_f16_e32 v61, v39, v2
	v_add_f16_e32 v65, v69, v71
	v_sub_f16_e32 v69, v9, v10
	v_fma_f16 v71, -0.5, v73, v63
	v_sub_f16_e32 v73, v67, v11
	v_add_f16_e32 v75, v74, v8
	v_add_f16_e32 v77, v63, v74
	;; [unrolled: 1-line block ×7, first 2 shown]
	v_fma_f16 v45, -0.5, v45, v32
	v_fmac_f16_e32 v32, -0.5, v52
	v_add_f16_e32 v52, v64, v9
	v_add_f16_e32 v58, v58, v61
	v_sub_f16_e32 v61, v10, v9
	v_add_f16_e32 v69, v69, v73
	v_sub_f16_e32 v73, v11, v67
	v_add_f16_e32 v0, v0, v47
	v_fmac_f16_e32 v63, -0.5, v75
	v_fma_f16 v75, -0.5, v1, v64
	v_fmac_f16_e32 v64, -0.5, v43
	v_mul_u32_u24_sdwa v1, v26, v54 dst_sel:DWORD dst_unused:UNUSED_PAD src0_sel:WORD_0 src1_sel:DWORD
	v_mul_u32_u24_sdwa v43, v27, v54 dst_sel:DWORD dst_unused:UNUSED_PAD src0_sel:WORD_0 src1_sel:DWORD
	v_sub_f16_e32 v47, v47, v48
	v_add_f16_e32 v54, v61, v73
	v_add_f16_e32 v60, v60, v4
	;; [unrolled: 1-line block ×4, first 2 shown]
	v_sub_f16_e32 v49, v49, v46
	v_sub_f16_e32 v66, v66, v72
	v_add_f16_e32 v48, v0, v48
	v_add_f16_e32 v55, v55, v68
	v_sub_f16_e32 v68, v68, v70
	v_add_f16_e32 v56, v56, v33
	v_sub_f16_e32 v74, v74, v8
	v_sub_f16_e32 v4, v4, v5
	;; [unrolled: 1-line block ×5, first 2 shown]
	v_add_f16_e32 v5, v60, v5
	v_add_f16_e32 v60, v73, v78
	;; [unrolled: 1-line block ×3, first 2 shown]
	v_fmamk_f16 v52, v66, 0x3b9c, v79
	v_fmac_f16_e32 v79, 0xbb9c, v66
	v_fmamk_f16 v73, v49, 0xbb9c, v42
	v_fmac_f16_e32 v42, 0x3b9c, v49
	;; [unrolled: 2-line block ×3, first 2 shown]
	v_lshrrev_b32_e32 v43, 23, v43
	v_add_f16_e32 v55, v55, v70
	v_sub_f16_e32 v33, v33, v39
	v_sub_f16_e32 v44, v44, v6
	;; [unrolled: 1-line block ×3, first 2 shown]
	v_add_f16_e32 v39, v56, v39
	v_fmamk_f16 v56, v68, 0xbb9c, v34
	v_fmac_f16_e32 v34, 0x3b9c, v68
	v_add_f16_e32 v46, v48, v46
	v_fmamk_f16 v48, v74, 0x3b9c, v57
	v_fmac_f16_e32 v57, 0xbb9c, v74
	v_lshrrev_b32_e32 v61, 23, v1
	v_fmac_f16_e32 v52, 0x38b4, v68
	v_fmac_f16_e32 v79, 0xb8b4, v68
	v_fmamk_f16 v68, v76, 0xbb9c, v31
	v_fmac_f16_e32 v31, 0x3b9c, v76
	v_fmac_f16_e32 v73, 0xb8b4, v47
	v_fmac_f16_e32 v42, 0x38b4, v47
	v_fmamk_f16 v47, v9, 0x3b9c, v45
	v_fmac_f16_e32 v45, 0xbb9c, v9
	;; [unrolled: 4-line block ×3, first 2 shown]
	v_mul_lo_u16 v43, 0xe1, v43
	v_fmac_f16_e32 v56, 0x38b4, v66
	v_fmac_f16_e32 v34, 0xb8b4, v66
	v_fmamk_f16 v66, v44, 0xbb9c, v71
	v_fmac_f16_e32 v71, 0x3b9c, v44
	v_add_f16_e32 v55, v55, v72
	v_fmamk_f16 v72, v4, 0x3b9c, v63
	v_fmac_f16_e32 v63, 0xbb9c, v4
	v_add_f16_e32 v5, v5, v6
	v_fmamk_f16 v6, v7, 0xbb9c, v75
	v_fmac_f16_e32 v75, 0x3b9c, v7
	v_fmac_f16_e32 v48, 0x38b4, v76
	;; [unrolled: 1-line block ×3, first 2 shown]
	v_fmamk_f16 v76, v33, 0x3b9c, v64
	v_fmac_f16_e32 v64, 0xbb9c, v33
	v_add_nc_u32_e32 v0, 0x5a, v16
	v_mov_b32_e32 v1, v17
	v_mul_lo_u16 v70, 0xe1, v61
	v_fmac_f16_e32 v31, 0xb8b4, v74
	v_fmac_f16_e32 v47, 0x38b4, v10
	;; [unrolled: 1-line block ×4, first 2 shown]
	v_sub_nc_u16 v43, v27, v43
	v_fmac_f16_e32 v68, 0x38b4, v74
	v_fmac_f16_e32 v66, 0xb8b4, v4
	;; [unrolled: 1-line block ×10, first 2 shown]
	v_lshlrev_b64 v[0:1], 2, v[0:1]
	v_fmac_f16_e32 v52, 0x34f2, v3
	v_fmac_f16_e32 v73, 0x34f2, v41
	;; [unrolled: 1-line block ×6, first 2 shown]
	v_sub_nc_u16 v70, v26, v70
	v_fmac_f16_e32 v79, 0x34f2, v3
	v_fmac_f16_e32 v42, 0x34f2, v41
	;; [unrolled: 1-line block ×6, first 2 shown]
	v_add_f16_e32 v8, v60, v8
	v_add_f16_e32 v2, v39, v2
	;; [unrolled: 1-line block ×3, first 2 shown]
	v_fmac_f16_e32 v48, 0x34f2, v53
	v_fmac_f16_e32 v57, 0x34f2, v53
	;; [unrolled: 1-line block ×12, first 2 shown]
	ds_write_b16 v30, v46
	ds_write_b16 v30, v52 offset:90
	ds_write_b16 v30, v56 offset:180
	ds_write_b16 v30, v34 offset:270
	ds_write_b16 v30, v79 offset:360
	ds_write_b16 v21, v5
	ds_write_b16 v21, v48 offset:90
	ds_write_b16 v21, v68 offset:180
	ds_write_b16 v21, v31 offset:270
	ds_write_b16 v21, v57 offset:360
	;; [unrolled: 5-line block ×3, first 2 shown]
	s_waitcnt lgkmcnt(0)
	s_barrier
	buffer_gl0_inv
	ds_read_u16 v10, v23 offset:1890
	ds_read_u16 v11, v23
	ds_read_u16 v31, v23 offset:270
	ds_read_u16 v32, v23 offset:540
	;; [unrolled: 1-line block ×13, first 2 shown]
	s_waitcnt lgkmcnt(0)
	s_barrier
	buffer_gl0_inv
	ds_write_b16 v30, v55
	ds_write_b16 v30, v73 offset:90
	ds_write_b16 v30, v77 offset:180
	ds_write_b16 v30, v62 offset:270
	ds_write_b16 v30, v42 offset:360
	ds_write_b16 v21, v8
	ds_write_b16 v21, v66 offset:90
	ds_write_b16 v21, v72 offset:180
	ds_write_b16 v21, v63 offset:270
	ds_write_b16 v21, v71 offset:360
	;; [unrolled: 5-line block ×3, first 2 shown]
	v_and_b32_e32 v21, 0xffff, v43
	v_add_co_u32 v0, s0, s12, v0
	v_add_co_ci_u32_e64 v1, s0, s13, v1, s0
	v_lshlrev_b32_sdwa v6, v28, v70 dst_sel:DWORD dst_unused:UNUSED_PAD src0_sel:DWORD src1_sel:WORD_0
	v_lshlrev_b32_e32 v8, 3, v21
	s_waitcnt lgkmcnt(0)
	s_barrier
	buffer_gl0_inv
	s_clause 0x4
	global_load_dwordx2 v[2:3], v[18:19], off offset:888
	global_load_dwordx2 v[4:5], v[36:37], off offset:888
	;; [unrolled: 1-line block ×3, first 2 shown]
	global_load_dwordx2 v[6:7], v6, s[12:13] offset:888
	global_load_dwordx2 v[8:9], v8, s[12:13] offset:888
	v_cmp_lt_u32_e64 s0, 0x59, v22
	v_mul_u32_u24_e32 v30, 0x546, v61
	v_lshlrev_b32_sdwa v29, v29, v70 dst_sel:DWORD dst_unused:UNUSED_PAD src0_sel:DWORD src1_sel:WORD_0
	v_add_nc_u32_e32 v16, 0, v16
	v_cndmask_b32_e64 v28, 0, 0x546, s0
	v_add3_u32 v29, 0, v30, v29
	v_lshl_add_u32 v30, v21, 1, 0
	v_add3_u32 v36, 0, v28, v20
	ds_read_u16 v20, v23 offset:1350
	ds_read_u16 v28, v23 offset:2700
	;; [unrolled: 1-line block ×6, first 2 shown]
	ds_read_u16 v48, v23
	ds_read_u16 v49, v23 offset:270
	ds_read_u16 v50, v23 offset:540
	;; [unrolled: 1-line block ×8, first 2 shown]
	s_waitcnt vmcnt(0) lgkmcnt(0)
	s_barrier
	buffer_gl0_inv
	v_mul_f16_sdwa v57, v20, v2 dst_sel:DWORD dst_unused:UNUSED_PAD src0_sel:DWORD src1_sel:WORD_1
	v_mul_f16_sdwa v58, v38, v2 dst_sel:DWORD dst_unused:UNUSED_PAD src0_sel:DWORD src1_sel:WORD_1
	;; [unrolled: 1-line block ×20, first 2 shown]
	v_fma_f16 v38, v38, v2, -v57
	v_fmac_f16_e32 v58, v20, v2
	v_fma_f16 v2, v46, v3, -v59
	v_fmac_f16_e32 v60, v28, v3
	;; [unrolled: 2-line block ×10, first 2 shown]
	v_add_f16_e32 v10, v38, v2
	v_sub_f16_e32 v20, v58, v60
	v_add_f16_e32 v21, v48, v58
	v_add_f16_e32 v28, v58, v60
	;; [unrolled: 1-line block ×10, first 2 shown]
	v_sub_f16_e32 v34, v38, v2
	v_sub_f16_e32 v38, v62, v64
	v_add_f16_e32 v40, v49, v62
	v_add_f16_e32 v62, v74, v76
	v_fmac_f16_e32 v11, -0.5, v10
	v_add_f16_e32 v35, v31, v3
	v_sub_f16_e32 v3, v3, v4
	v_add_f16_e32 v42, v32, v5
	v_sub_f16_e32 v44, v66, v68
	;; [unrolled: 2-line block ×6, first 2 shown]
	v_fmac_f16_e32 v48, -0.5, v28
	v_fmac_f16_e32 v31, -0.5, v37
	;; [unrolled: 1-line block ×8, first 2 shown]
	v_add_f16_e32 v61, v56, v74
	v_sub_f16_e32 v7, v7, v8
	v_add_f16_e32 v2, v9, v2
	v_fmac_f16_e32 v56, -0.5, v62
	v_fmamk_f16 v9, v20, 0x3aee, v11
	v_fmac_f16_e32 v11, 0xbaee, v20
	v_add_f16_e32 v4, v35, v4
	v_add_f16_e32 v0, v42, v0
	;; [unrolled: 1-line block ×4, first 2 shown]
	v_fmamk_f16 v42, v34, 0xbaee, v48
	v_fmac_f16_e32 v48, 0x3aee, v34
	v_fmamk_f16 v10, v38, 0x3aee, v31
	v_fmac_f16_e32 v31, 0xbaee, v38
	;; [unrolled: 2-line block ×3, first 2 shown]
	v_fmamk_f16 v3, v44, 0x3aee, v32
	v_fmamk_f16 v38, v5, 0xbaee, v50
	v_fmac_f16_e32 v50, 0x3aee, v5
	v_fmamk_f16 v5, v53, 0x3aee, v33
	v_fmamk_f16 v43, v1, 0xbaee, v51
	v_fmac_f16_e32 v51, 0x3aee, v1
	v_fmamk_f16 v1, v59, 0x3aee, v39
	v_add_f16_e32 v60, v21, v60
	v_fmac_f16_e32 v32, 0xbaee, v44
	v_fmac_f16_e32 v33, 0xbaee, v53
	;; [unrolled: 1-line block ×3, first 2 shown]
	v_fmamk_f16 v44, v7, 0xbaee, v56
	v_fmac_f16_e32 v56, 0x3aee, v7
	ds_write_b16 v23, v2
	ds_write_b16 v23, v9 offset:450
	ds_write_b16 v23, v11 offset:900
	ds_write_b16 v36, v4
	ds_write_b16 v36, v10 offset:450
	ds_write_b16 v36, v31 offset:900
	;; [unrolled: 1-line block ×5, first 2 shown]
	ds_write_b16 v29, v6
	ds_write_b16 v29, v5 offset:450
	ds_write_b16 v29, v33 offset:900
	;; [unrolled: 1-line block ×5, first 2 shown]
	s_waitcnt lgkmcnt(0)
	s_barrier
	buffer_gl0_inv
	ds_read_u16 v5, v23 offset:1890
	ds_read_u16 v10, v23
	ds_read_u16 v0, v23 offset:270
	ds_read_u16 v1, v23 offset:540
	;; [unrolled: 1-line block ×13, first 2 shown]
	v_add_f16_e32 v35, v40, v64
	v_add_f16_e32 v37, v45, v68
	;; [unrolled: 1-line block ×4, first 2 shown]
	s_waitcnt lgkmcnt(0)
	s_barrier
	buffer_gl0_inv
	ds_write_b16 v23, v60
	ds_write_b16 v23, v42 offset:450
	ds_write_b16 v23, v48 offset:900
	ds_write_b16 v36, v35
	ds_write_b16 v36, v34 offset:450
	ds_write_b16 v36, v49 offset:900
	;; [unrolled: 1-line block ×5, first 2 shown]
	ds_write_b16 v29, v40
	ds_write_b16 v29, v43 offset:450
	ds_write_b16 v29, v51 offset:900
	;; [unrolled: 1-line block ×5, first 2 shown]
	s_waitcnt lgkmcnt(0)
	s_barrier
	buffer_gl0_inv
	s_and_saveexec_b32 s0, vcc_lo
	s_cbranch_execz .LBB0_15
; %bb.14:
	v_lshlrev_b32_e32 v16, 1, v27
	v_add_co_u32 v18, vcc_lo, 0x800, v18
	v_add_co_ci_u32_e32 v19, vcc_lo, 0, v19, vcc_lo
	v_lshlrev_b64 v[29:30], 2, v[16:17]
	v_lshlrev_b32_e32 v16, 1, v26
	v_mul_hi_u32 v35, 0xc22e4507, v22
	global_load_dwordx2 v[18:19], v[18:19], off offset:640
	v_add_nc_u32_e32 v37, 0x87, v22
	v_mul_lo_u32 v33, s2, v15
	v_add_co_u32 v27, vcc_lo, s12, v29
	v_add_co_ci_u32_e32 v29, vcc_lo, s13, v30, vcc_lo
	v_add_nc_u32_e32 v40, 0x21c, v22
	v_add_co_u32 v26, vcc_lo, 0x800, v27
	v_add_co_ci_u32_e32 v27, vcc_lo, 0, v29, vcc_lo
	v_lshlrev_b64 v[29:30], 2, v[16:17]
	v_lshlrev_b32_e32 v16, 1, v25
	v_mul_hi_u32 v41, 0xc22e4507, v37
	global_load_dwordx2 v[26:27], v[26:27], off offset:640
	v_lshrrev_b32_e32 v44, 9, v35
	v_add_nc_u32_e32 v38, 0x10e, v22
	v_add_co_u32 v29, vcc_lo, s12, v29
	v_add_co_ci_u32_e32 v30, vcc_lo, s13, v30, vcc_lo
	v_lshlrev_b64 v[31:32], 2, v[16:17]
	v_add_co_u32 v29, vcc_lo, 0x800, v29
	v_add_co_ci_u32_e32 v30, vcc_lo, 0, v30, vcc_lo
	v_lshrrev_b32_e32 v41, 9, v41
	v_add_co_u32 v16, vcc_lo, s12, v31
	global_load_dwordx2 v[29:30], v[29:30], off offset:640
	v_add_co_ci_u32_e32 v25, vcc_lo, s13, v32, vcc_lo
	v_add_co_u32 v31, vcc_lo, 0x800, v16
	v_lshlrev_b32_e32 v16, 1, v24
	v_add_co_ci_u32_e32 v32, vcc_lo, 0, v25, vcc_lo
	v_add_nc_u32_e32 v39, 0x195, v22
	v_mul_hi_u32 v42, 0xc22e4507, v38
	v_lshlrev_b64 v[12:13], 2, v[12:13]
	global_load_dwordx2 v[24:25], v[31:32], off offset:640
	v_lshlrev_b64 v[31:32], 2, v[16:17]
	v_mul_hi_u32 v43, 0xc22e4507, v39
	v_mov_b32_e32 v34, v17
	v_mov_b32_e32 v35, v17
	;; [unrolled: 1-line block ×3, first 2 shown]
	v_add_co_u32 v16, vcc_lo, s12, v31
	v_add_co_ci_u32_e32 v32, vcc_lo, s13, v32, vcc_lo
	v_lshrrev_b32_e32 v49, 9, v43
	v_add_co_u32 v31, vcc_lo, 0x800, v16
	v_add_co_ci_u32_e32 v32, vcc_lo, 0, v32, vcc_lo
	v_mul_lo_u32 v16, s3, v14
	v_mad_u64_u32 v[14:15], null, s2, v14, 0
	global_load_dwordx2 v[31:32], v[31:32], off offset:640
	ds_read_u16 v55, v23 offset:3780
	ds_read_u16 v56, v23 offset:3510
	;; [unrolled: 1-line block ×14, first 2 shown]
	ds_read_u16 v69, v23
	v_mov_b32_e32 v23, v17
	v_add3_u32 v15, v15, v33, v16
	v_mul_hi_u32 v16, 0xc22e4507, v40
	v_mul_u32_u24_e32 v33, 0x2a3, v44
	v_lshrrev_b32_e32 v44, 9, v42
	v_mul_u32_u24_e32 v42, 0x2a3, v49
	v_lshlrev_b64 v[14:15], 2, v[14:15]
	v_lshrrev_b32_e32 v53, 9, v16
	v_sub_nc_u32_e32 v16, v22, v33
	v_mul_u32_u24_e32 v22, 0x2a3, v41
	v_add_co_u32 v14, vcc_lo, s10, v14
	v_add_co_ci_u32_e32 v15, vcc_lo, s11, v15, vcc_lo
	v_lshlrev_b32_e32 v45, 2, v16
	v_sub_nc_u32_e32 v16, v37, v22
	v_mul_u32_u24_e32 v33, 0x2a3, v44
	v_add_co_u32 v70, vcc_lo, v14, v12
	v_add_co_ci_u32_e32 v71, vcc_lo, v15, v13, vcc_lo
	v_mad_u32_u24 v16, 0x7e9, v41, v16
	v_sub_nc_u32_e32 v33, v38, v33
	v_add_co_u32 v12, vcc_lo, v70, v45
	v_add_co_ci_u32_e32 v13, vcc_lo, 0, v71, vcc_lo
	v_lshlrev_b64 v[14:15], 2, v[16:17]
	v_add_nc_u32_e32 v22, 0x2a3, v16
	v_add_nc_u32_e32 v16, 0x546, v16
	v_mul_u32_u24_e32 v43, 0x2a3, v53
	v_sub_nc_u32_e32 v50, v39, v42
	v_add_co_u32 v37, vcc_lo, 0x800, v12
	v_lshlrev_b64 v[41:42], 2, v[16:17]
	v_mad_u32_u24 v16, 0x7e9, v44, v33
	v_add_co_ci_u32_e32 v38, vcc_lo, 0, v13, vcc_lo
	v_add_co_u32 v39, vcc_lo, 0x1000, v12
	v_lshlrev_b64 v[22:23], 2, v[22:23]
	v_sub_nc_u32_e32 v54, v40, v43
	v_add_co_ci_u32_e32 v40, vcc_lo, 0, v13, vcc_lo
	v_lshlrev_b64 v[43:44], 2, v[16:17]
	v_add_nc_u32_e32 v33, 0x2a3, v16
	v_add_nc_u32_e32 v16, 0x546, v16
	v_add_co_u32 v14, vcc_lo, v70, v14
	v_add_co_ci_u32_e32 v15, vcc_lo, v71, v15, vcc_lo
	v_add_co_u32 v22, vcc_lo, v70, v22
	v_lshlrev_b64 v[47:48], 2, v[16:17]
	v_mad_u32_u24 v16, 0x7e9, v49, v50
	v_add_co_ci_u32_e32 v23, vcc_lo, v71, v23, vcc_lo
	v_add_co_u32 v41, vcc_lo, v70, v41
	v_lshlrev_b64 v[45:46], 2, v[33:34]
	v_add_co_ci_u32_e32 v42, vcc_lo, v71, v42, vcc_lo
	v_add_co_u32 v43, vcc_lo, v70, v43
	v_lshlrev_b64 v[49:50], 2, v[16:17]
	v_add_nc_u32_e32 v34, 0x2a3, v16
	v_add_nc_u32_e32 v16, 0x546, v16
	v_add_co_ci_u32_e32 v44, vcc_lo, v71, v44, vcc_lo
	v_add_co_u32 v45, vcc_lo, v70, v45
	v_add_co_ci_u32_e32 v46, vcc_lo, v71, v46, vcc_lo
	v_lshlrev_b64 v[51:52], 2, v[16:17]
	v_mad_u32_u24 v16, 0x7e9, v53, v54
	v_add_co_u32 v47, vcc_lo, v70, v47
	v_lshlrev_b64 v[33:34], 2, v[34:35]
	v_add_co_ci_u32_e32 v48, vcc_lo, v71, v48, vcc_lo
	v_add_co_u32 v49, vcc_lo, v70, v49
	v_add_nc_u32_e32 v35, 0x2a3, v16
	v_add_co_ci_u32_e32 v50, vcc_lo, v71, v50, vcc_lo
	v_lshlrev_b64 v[53:54], 2, v[16:17]
	v_add_co_u32 v33, vcc_lo, v70, v33
	v_add_nc_u32_e32 v16, 0x546, v16
	v_add_co_ci_u32_e32 v34, vcc_lo, v71, v34, vcc_lo
	v_add_co_u32 v51, vcc_lo, v70, v51
	v_lshlrev_b64 v[35:36], 2, v[35:36]
	v_add_co_ci_u32_e32 v52, vcc_lo, v71, v52, vcc_lo
	v_lshlrev_b64 v[16:17], 2, v[16:17]
	v_add_co_u32 v53, vcc_lo, v70, v53
	v_add_co_ci_u32_e32 v54, vcc_lo, v71, v54, vcc_lo
	v_add_co_u32 v35, vcc_lo, v70, v35
	v_add_co_ci_u32_e32 v36, vcc_lo, v71, v36, vcc_lo
	;; [unrolled: 2-line block ×3, first 2 shown]
	s_waitcnt vmcnt(4) lgkmcnt(5)
	v_mul_f16_sdwa v72, v64, v18 dst_sel:DWORD dst_unused:UNUSED_PAD src0_sel:DWORD src1_sel:WORD_1
	v_mul_f16_sdwa v73, v59, v19 dst_sel:DWORD dst_unused:UNUSED_PAD src0_sel:DWORD src1_sel:WORD_1
	;; [unrolled: 1-line block ×4, first 2 shown]
	v_fma_f16 v21, v21, v18, -v72
	v_fma_f16 v28, v28, v19, -v73
	v_fmac_f16_e32 v74, v18, v64
	v_fmac_f16_e32 v75, v19, v59
	v_sub_f16_e32 v18, v21, v28
	v_add_f16_e32 v64, v21, v28
	v_add_f16_e32 v19, v74, v75
	;; [unrolled: 1-line block ×3, first 2 shown]
	s_waitcnt lgkmcnt(0)
	v_add_f16_e32 v59, v74, v69
	s_waitcnt vmcnt(3)
	v_mul_f16_sdwa v71, v11, v27 dst_sel:DWORD dst_unused:UNUSED_PAD src0_sel:DWORD src1_sel:WORD_1
	v_fma_f16 v10, -0.5, v64, v10
	v_fma_f16 v19, -0.5, v19, v69
	v_add_f16_e32 v21, v21, v28
	v_mul_f16_sdwa v28, v60, v26 dst_sel:DWORD dst_unused:UNUSED_PAD src0_sel:DWORD src1_sel:WORD_1
	v_mul_f16_sdwa v64, v55, v27 dst_sel:DWORD dst_unused:UNUSED_PAD src0_sel:DWORD src1_sel:WORD_1
	;; [unrolled: 1-line block ×3, first 2 shown]
	v_sub_f16_e32 v70, v74, v75
	v_add_f16_e32 v59, v75, v59
	v_fma_f16 v20, v20, v26, -v28
	v_fma_f16 v11, v11, v27, -v64
	v_fmac_f16_e32 v69, v26, v60
	v_fmac_f16_e32 v71, v27, v55
	v_fmamk_f16 v72, v18, 0x3aee, v19
	s_waitcnt vmcnt(2)
	v_mul_f16_sdwa v26, v61, v29 dst_sel:DWORD dst_unused:UNUSED_PAD src0_sel:DWORD src1_sel:WORD_1
	v_mul_f16_sdwa v27, v56, v30 dst_sel:DWORD dst_unused:UNUSED_PAD src0_sel:DWORD src1_sel:WORD_1
	;; [unrolled: 1-line block ×4, first 2 shown]
	v_fmac_f16_e32 v19, 0xbaee, v18
	v_fmamk_f16 v18, v70, 0xbaee, v10
	v_fmac_f16_e32 v10, 0x3aee, v70
	v_pack_b32_f16 v21, v21, v59
	v_fma_f16 v8, v8, v29, -v26
	v_fma_f16 v9, v9, v30, -v27
	v_fmac_f16_e32 v28, v29, v61
	v_fmac_f16_e32 v55, v30, v56
	s_waitcnt vmcnt(1)
	v_mul_f16_sdwa v26, v62, v24 dst_sel:DWORD dst_unused:UNUSED_PAD src0_sel:DWORD src1_sel:WORD_1
	v_mul_f16_sdwa v27, v57, v25 dst_sel:DWORD dst_unused:UNUSED_PAD src0_sel:DWORD src1_sel:WORD_1
	;; [unrolled: 1-line block ×4, first 2 shown]
	global_store_dword v[12:13], v21, off
	v_pack_b32_f16 v10, v10, v19
	v_pack_b32_f16 v12, v18, v72
	v_add_f16_e32 v18, v69, v71
	v_add_f16_e32 v19, v69, v65
	;; [unrolled: 1-line block ×3, first 2 shown]
	v_sub_f16_e32 v13, v20, v11
	v_add_f16_e32 v20, v7, v20
	v_fma_f16 v5, v5, v24, -v26
	v_fma_f16 v6, v6, v25, -v27
	v_fmac_f16_e32 v29, v24, v62
	v_fmac_f16_e32 v30, v25, v57
	global_store_dword v[37:38], v10, off offset:652
	global_store_dword v[39:40], v12, off offset:1304
	v_fma_f16 v10, -0.5, v18, v65
	s_waitcnt vmcnt(0)
	v_mul_f16_sdwa v24, v63, v31 dst_sel:DWORD dst_unused:UNUSED_PAD src0_sel:DWORD src1_sel:WORD_1
	v_mul_f16_sdwa v25, v58, v32 dst_sel:DWORD dst_unused:UNUSED_PAD src0_sel:DWORD src1_sel:WORD_1
	;; [unrolled: 1-line block ×4, first 2 shown]
	v_add_f16_e32 v12, v71, v19
	v_fma_f16 v7, -0.5, v21, v7
	v_sub_f16_e32 v18, v8, v9
	v_add_f16_e32 v19, v28, v55
	v_add_f16_e32 v21, v8, v9
	;; [unrolled: 1-line block ×6, first 2 shown]
	v_fma_f16 v2, v2, v31, -v24
	v_fma_f16 v4, v4, v32, -v25
	v_fmac_f16_e32 v26, v31, v63
	v_fmac_f16_e32 v27, v32, v58
	v_sub_f16_e32 v28, v28, v55
	v_fma_f16 v19, -0.5, v19, v66
	v_fma_f16 v3, -0.5, v21, v3
	v_add_f16_e32 v8, v8, v9
	v_sub_f16_e32 v9, v5, v6
	v_add_f16_e32 v39, v5, v6
	v_add_f16_e32 v5, v1, v5
	v_add_f16_e32 v20, v55, v20
	v_add_f16_e32 v21, v29, v30
	v_sub_f16_e32 v29, v29, v30
	v_add_f16_e32 v24, v30, v38
	v_add_f16_e32 v25, v26, v27
	;; [unrolled: 1-line block ×3, first 2 shown]
	v_sub_f16_e32 v59, v69, v71
	v_pack_b32_f16 v11, v11, v12
	v_fmamk_f16 v12, v18, 0x3aee, v19
	v_fmac_f16_e32 v19, 0xbaee, v18
	v_fmamk_f16 v18, v28, 0xbaee, v3
	v_fmac_f16_e32 v3, 0x3aee, v28
	v_add_f16_e32 v5, v5, v6
	v_sub_f16_e32 v6, v2, v4
	v_add_f16_e32 v28, v26, v68
	v_add_f16_e32 v2, v0, v2
	v_sub_f16_e32 v26, v26, v27
	v_pack_b32_f16 v8, v8, v20
	v_fma_f16 v20, -0.5, v25, v68
	v_fma_f16 v0, -0.5, v30, v0
	v_fmamk_f16 v37, v13, 0x3aee, v10
	v_fmac_f16_e32 v10, 0xbaee, v13
	v_fmamk_f16 v13, v59, 0xbaee, v7
	v_fmac_f16_e32 v7, 0x3aee, v59
	v_fma_f16 v21, -0.5, v21, v67
	v_fma_f16 v1, -0.5, v39, v1
	v_add_f16_e32 v25, v27, v28
	v_add_f16_e32 v2, v2, v4
	v_fmamk_f16 v4, v6, 0x3aee, v20
	v_fmac_f16_e32 v20, 0xbaee, v6
	v_fmamk_f16 v6, v26, 0xbaee, v0
	v_fmac_f16_e32 v0, 0x3aee, v26
	v_pack_b32_f16 v7, v7, v10
	v_pack_b32_f16 v10, v13, v37
	v_fmamk_f16 v13, v9, 0x3aee, v21
	v_fmac_f16_e32 v21, 0xbaee, v9
	v_fmamk_f16 v9, v29, 0xbaee, v1
	v_fmac_f16_e32 v1, 0x3aee, v29
	v_pack_b32_f16 v2, v2, v25
	v_pack_b32_f16 v0, v0, v20
	;; [unrolled: 1-line block ×8, first 2 shown]
	global_store_dword v[14:15], v2, off
	global_store_dword v[22:23], v0, off
	;; [unrolled: 1-line block ×12, first 2 shown]
.LBB0_15:
	s_endpgm
	.section	.rodata,"a",@progbits
	.p2align	6, 0x0
	.amdhsa_kernel fft_rtc_fwd_len2025_factors_3_3_5_5_3_3_wgs_135_tpt_135_halfLds_half_op_CI_CI_unitstride_sbrr_dirReg
		.amdhsa_group_segment_fixed_size 0
		.amdhsa_private_segment_fixed_size 0
		.amdhsa_kernarg_size 104
		.amdhsa_user_sgpr_count 6
		.amdhsa_user_sgpr_private_segment_buffer 1
		.amdhsa_user_sgpr_dispatch_ptr 0
		.amdhsa_user_sgpr_queue_ptr 0
		.amdhsa_user_sgpr_kernarg_segment_ptr 1
		.amdhsa_user_sgpr_dispatch_id 0
		.amdhsa_user_sgpr_flat_scratch_init 0
		.amdhsa_user_sgpr_private_segment_size 0
		.amdhsa_wavefront_size32 1
		.amdhsa_uses_dynamic_stack 0
		.amdhsa_system_sgpr_private_segment_wavefront_offset 0
		.amdhsa_system_sgpr_workgroup_id_x 1
		.amdhsa_system_sgpr_workgroup_id_y 0
		.amdhsa_system_sgpr_workgroup_id_z 0
		.amdhsa_system_sgpr_workgroup_info 0
		.amdhsa_system_vgpr_workitem_id 0
		.amdhsa_next_free_vgpr 81
		.amdhsa_next_free_sgpr 27
		.amdhsa_reserve_vcc 1
		.amdhsa_reserve_flat_scratch 0
		.amdhsa_float_round_mode_32 0
		.amdhsa_float_round_mode_16_64 0
		.amdhsa_float_denorm_mode_32 3
		.amdhsa_float_denorm_mode_16_64 3
		.amdhsa_dx10_clamp 1
		.amdhsa_ieee_mode 1
		.amdhsa_fp16_overflow 0
		.amdhsa_workgroup_processor_mode 1
		.amdhsa_memory_ordered 1
		.amdhsa_forward_progress 0
		.amdhsa_shared_vgpr_count 0
		.amdhsa_exception_fp_ieee_invalid_op 0
		.amdhsa_exception_fp_denorm_src 0
		.amdhsa_exception_fp_ieee_div_zero 0
		.amdhsa_exception_fp_ieee_overflow 0
		.amdhsa_exception_fp_ieee_underflow 0
		.amdhsa_exception_fp_ieee_inexact 0
		.amdhsa_exception_int_div_zero 0
	.end_amdhsa_kernel
	.text
.Lfunc_end0:
	.size	fft_rtc_fwd_len2025_factors_3_3_5_5_3_3_wgs_135_tpt_135_halfLds_half_op_CI_CI_unitstride_sbrr_dirReg, .Lfunc_end0-fft_rtc_fwd_len2025_factors_3_3_5_5_3_3_wgs_135_tpt_135_halfLds_half_op_CI_CI_unitstride_sbrr_dirReg
                                        ; -- End function
	.section	.AMDGPU.csdata,"",@progbits
; Kernel info:
; codeLenInByte = 11700
; NumSgprs: 29
; NumVgprs: 81
; ScratchSize: 0
; MemoryBound: 0
; FloatMode: 240
; IeeeMode: 1
; LDSByteSize: 0 bytes/workgroup (compile time only)
; SGPRBlocks: 3
; VGPRBlocks: 10
; NumSGPRsForWavesPerEU: 29
; NumVGPRsForWavesPerEU: 81
; Occupancy: 10
; WaveLimiterHint : 1
; COMPUTE_PGM_RSRC2:SCRATCH_EN: 0
; COMPUTE_PGM_RSRC2:USER_SGPR: 6
; COMPUTE_PGM_RSRC2:TRAP_HANDLER: 0
; COMPUTE_PGM_RSRC2:TGID_X_EN: 1
; COMPUTE_PGM_RSRC2:TGID_Y_EN: 0
; COMPUTE_PGM_RSRC2:TGID_Z_EN: 0
; COMPUTE_PGM_RSRC2:TIDIG_COMP_CNT: 0
	.text
	.p2alignl 6, 3214868480
	.fill 48, 4, 3214868480
	.type	__hip_cuid_bbb0c083c7765bd2,@object ; @__hip_cuid_bbb0c083c7765bd2
	.section	.bss,"aw",@nobits
	.globl	__hip_cuid_bbb0c083c7765bd2
__hip_cuid_bbb0c083c7765bd2:
	.byte	0                               ; 0x0
	.size	__hip_cuid_bbb0c083c7765bd2, 1

	.ident	"AMD clang version 19.0.0git (https://github.com/RadeonOpenCompute/llvm-project roc-6.4.0 25133 c7fe45cf4b819c5991fe208aaa96edf142730f1d)"
	.section	".note.GNU-stack","",@progbits
	.addrsig
	.addrsig_sym __hip_cuid_bbb0c083c7765bd2
	.amdgpu_metadata
---
amdhsa.kernels:
  - .args:
      - .actual_access:  read_only
        .address_space:  global
        .offset:         0
        .size:           8
        .value_kind:     global_buffer
      - .offset:         8
        .size:           8
        .value_kind:     by_value
      - .actual_access:  read_only
        .address_space:  global
        .offset:         16
        .size:           8
        .value_kind:     global_buffer
      - .actual_access:  read_only
        .address_space:  global
        .offset:         24
        .size:           8
        .value_kind:     global_buffer
      - .actual_access:  read_only
        .address_space:  global
        .offset:         32
        .size:           8
        .value_kind:     global_buffer
      - .offset:         40
        .size:           8
        .value_kind:     by_value
      - .actual_access:  read_only
        .address_space:  global
        .offset:         48
        .size:           8
        .value_kind:     global_buffer
      - .actual_access:  read_only
        .address_space:  global
        .offset:         56
        .size:           8
        .value_kind:     global_buffer
      - .offset:         64
        .size:           4
        .value_kind:     by_value
      - .actual_access:  read_only
        .address_space:  global
        .offset:         72
        .size:           8
        .value_kind:     global_buffer
      - .actual_access:  read_only
        .address_space:  global
        .offset:         80
        .size:           8
        .value_kind:     global_buffer
      - .actual_access:  read_only
        .address_space:  global
        .offset:         88
        .size:           8
        .value_kind:     global_buffer
      - .actual_access:  write_only
        .address_space:  global
        .offset:         96
        .size:           8
        .value_kind:     global_buffer
    .group_segment_fixed_size: 0
    .kernarg_segment_align: 8
    .kernarg_segment_size: 104
    .language:       OpenCL C
    .language_version:
      - 2
      - 0
    .max_flat_workgroup_size: 135
    .name:           fft_rtc_fwd_len2025_factors_3_3_5_5_3_3_wgs_135_tpt_135_halfLds_half_op_CI_CI_unitstride_sbrr_dirReg
    .private_segment_fixed_size: 0
    .sgpr_count:     29
    .sgpr_spill_count: 0
    .symbol:         fft_rtc_fwd_len2025_factors_3_3_5_5_3_3_wgs_135_tpt_135_halfLds_half_op_CI_CI_unitstride_sbrr_dirReg.kd
    .uniform_work_group_size: 1
    .uses_dynamic_stack: false
    .vgpr_count:     81
    .vgpr_spill_count: 0
    .wavefront_size: 32
    .workgroup_processor_mode: 1
amdhsa.target:   amdgcn-amd-amdhsa--gfx1030
amdhsa.version:
  - 1
  - 2
...

	.end_amdgpu_metadata
